;; amdgpu-corpus repo=zjin-lcf/HeCBench kind=compiled arch=gfx1030 opt=O3
	.amdgcn_target "amdgcn-amd-amdhsa--gfx1030"
	.amdhsa_code_object_version 6
	.text
	.protected	_Z14Padding_kerneliiiifPdPKdPi ; -- Begin function _Z14Padding_kerneliiiifPdPKdPi
	.globl	_Z14Padding_kerneliiiifPdPKdPi
	.p2align	8
	.type	_Z14Padding_kerneliiiifPdPKdPi,@function
_Z14Padding_kerneliiiifPdPKdPi:         ; @_Z14Padding_kerneliiiifPdPKdPi
; %bb.0:
	s_clause 0x1
	s_load_dwordx4 s[8:11], s[4:5], 0x0
	s_load_dword s0, s[4:5], 0x10
	s_waitcnt lgkmcnt(0)
	v_cvt_f32_i32_e32 v1, s11
	v_mul_f32_e32 v1, s0, v1
	v_cvt_i32_f32_e32 v1, v1
	v_readfirstlane_b32 s0, v1
	s_add_i32 s6, s0, s6
	s_cmp_ge_i32 s6, s11
	s_cbranch_scc1 .LBB0_138
; %bb.1:
	s_clause 0x1
	s_load_dword s0, s[4:5], 0x3c
	s_load_dword s19, s[4:5], 0x30
	s_add_i32 s10, s10, s8
	s_clause 0x1
	s_load_dwordx4 s[12:15], s[4:5], 0x18
	s_load_dwordx2 s[4:5], s[4:5], 0x28
	s_mul_i32 s9, s10, s9
	v_cmp_eq_u32_e32 vcc_lo, 0, v0
	s_waitcnt lgkmcnt(0)
	s_and_b32 s16, s0, 0xffff
	s_lshl_b32 s0, s16, 5
	v_cvt_f32_u32_e32 v1, s0
	s_sub_i32 s17, 0, s0
	s_add_i32 s3, s9, s0
	s_add_i32 s3, s3, -1
	v_rcp_iflag_f32_e32 v1, v1
	v_mul_f32_e32 v1, 0x4f7ffffe, v1
	v_cvt_u32_f32_e32 v1, v1
	v_readfirstlane_b32 s1, v1
	s_mul_i32 s2, s17, s1
	s_mul_hi_u32 s2, s1, s2
	s_add_i32 s1, s1, s2
	s_mul_hi_u32 s1, s3, s1
	s_mul_i32 s1, s1, s0
	s_sub_i32 s1, s3, s1
	s_sub_i32 s2, s1, s0
	s_cmp_ge_u32 s1, s0
	s_cselect_b32 s1, s2, s1
	s_sub_i32 s2, s1, s0
	s_cmp_ge_u32 s1, s0
	s_cselect_b32 s0, s2, s1
	s_abs_i32 s18, s10
	s_not_b32 s0, s0
	v_cvt_f32_u32_e32 v1, s18
	s_sub_i32 s1, 0, s18
	v_sub_nc_u32_e32 v3, s0, v0
	s_ashr_i32 s20, s10, 31
	v_rcp_iflag_f32_e32 v1, v1
	v_add_nc_u32_e32 v0, s3, v3
	v_mul_f32_e32 v1, 0x4f7ffffe, v1
	v_cvt_u32_f32_e32 v1, v1
	v_mul_lo_u32 v2, s1, v1
	v_mul_hi_u32 v2, v1, v2
	v_add_nc_u32_e32 v116, v1, v2
	v_mov_b32_e32 v2, 0
	s_branch .LBB0_3
.LBB0_2:                                ;   in Loop: Header=BB0_3 Depth=1
	s_or_b32 exec_lo, exec_lo, s1
	s_add_i32 s6, s6, s19
	s_cmp_ge_i32 s6, s11
	s_cbranch_scc1 .LBB0_138
.LBB0_3:                                ; =>This Loop Header: Depth=1
                                        ;     Child Loop BB0_70 Depth 2
	v_mad_u64_u32 v[3:4], null, s17, s6, v[0:1]
	v_mov_b32_e32 v7, 0
	v_mov_b32_e32 v8, 0
	v_sub_nc_u32_e32 v1, 0, v3
	v_max_i32_e32 v1, v3, v1
	v_mul_hi_u32 v4, v1, v116
	v_mul_lo_u32 v5, v4, s18
	v_sub_nc_u32_e32 v1, v1, v5
	v_add_nc_u32_e32 v5, 1, v4
	v_subrev_nc_u32_e32 v6, s18, v1
	v_cmp_le_u32_e64 s0, s18, v1
	v_cndmask_b32_e64 v4, v4, v5, s0
	v_cndmask_b32_e64 v1, v1, v6, s0
	v_ashrrev_i32_e32 v5, 31, v3
	v_add_nc_u32_e32 v6, 1, v4
	v_cmp_le_u32_e64 s0, s18, v1
	v_xor_b32_e32 v5, s20, v5
	v_cndmask_b32_e64 v1, v4, v6, s0
	v_xor_b32_e32 v1, v1, v5
	v_sub_nc_u32_e32 v4, v1, v5
	v_mov_b32_e32 v5, 0
	v_mov_b32_e32 v6, 0
	v_mul_lo_u32 v1, v4, s10
	v_sub_nc_u32_e32 v1, v3, v1
	v_mad_u64_u32 v[9:10], null, v4, s8, v[1:2]
	v_cmp_gt_i32_e64 s0, s8, v1
	v_cmp_gt_i32_e64 s1, s9, v9
	v_cmp_lt_i32_e64 s2, -1, v9
	s_and_b32 s0, s0, s1
	s_and_b32 s0, s0, s2
	s_and_saveexec_b32 s1, s0
	s_cbranch_execz .LBB0_5
; %bb.4:                                ;   in Loop: Header=BB0_3 Depth=1
	v_mov_b32_e32 v10, v2
	v_lshlrev_b64 v[7:8], 3, v[9:10]
	v_add_co_u32 v7, s0, s14, v7
	v_add_co_ci_u32_e64 v8, null, s15, v8, s0
	global_load_dwordx2 v[7:8], v[7:8], off
.LBB0_5:                                ;   in Loop: Header=BB0_3 Depth=1
	s_or_b32 exec_lo, exec_lo, s1
	v_subrev_nc_u32_e32 v1, s16, v3
	v_sub_nc_u32_e32 v4, 0, v1
	v_max_i32_e32 v4, v1, v4
	v_mul_hi_u32 v9, v4, v116
	v_mul_lo_u32 v10, v9, s18
	v_sub_nc_u32_e32 v4, v4, v10
	v_add_nc_u32_e32 v10, 1, v9
	v_subrev_nc_u32_e32 v11, s18, v4
	v_cmp_le_u32_e64 s0, s18, v4
	v_cndmask_b32_e64 v9, v9, v10, s0
	v_cndmask_b32_e64 v4, v4, v11, s0
	v_ashrrev_i32_e32 v10, 31, v1
	v_add_nc_u32_e32 v11, 1, v9
	v_cmp_le_u32_e64 s0, s18, v4
	v_xor_b32_e32 v10, s20, v10
	v_cndmask_b32_e64 v4, v9, v11, s0
	v_xor_b32_e32 v4, v4, v10
	v_sub_nc_u32_e32 v9, v4, v10
	v_mul_lo_u32 v4, v9, s10
	v_sub_nc_u32_e32 v4, v1, v4
	v_mad_u64_u32 v[9:10], null, v9, s8, v[4:5]
	v_cmp_gt_i32_e64 s0, s8, v4
	v_cmp_gt_i32_e64 s1, s9, v9
	v_cmp_lt_i32_e64 s2, -1, v9
	s_and_b32 s0, s0, s1
	s_and_b32 s0, s0, s2
	s_and_saveexec_b32 s1, s0
	s_cbranch_execz .LBB0_7
; %bb.6:                                ;   in Loop: Header=BB0_3 Depth=1
	v_mov_b32_e32 v10, v2
	v_lshlrev_b64 v[4:5], 3, v[9:10]
	v_add_co_u32 v4, s0, s14, v4
	v_add_co_ci_u32_e64 v5, null, s15, v5, s0
	global_load_dwordx2 v[5:6], v[4:5], off
.LBB0_7:                                ;   in Loop: Header=BB0_3 Depth=1
	s_or_b32 exec_lo, exec_lo, s1
	v_subrev_nc_u32_e32 v9, s16, v1
	v_sub_nc_u32_e32 v4, 0, v9
	v_max_i32_e32 v4, v9, v4
	v_mul_hi_u32 v10, v4, v116
	v_mul_lo_u32 v11, v10, s18
	v_sub_nc_u32_e32 v4, v4, v11
	v_add_nc_u32_e32 v11, 1, v10
	v_subrev_nc_u32_e32 v12, s18, v4
	v_cmp_le_u32_e64 s0, s18, v4
	v_cndmask_b32_e64 v10, v10, v11, s0
	v_cndmask_b32_e64 v4, v4, v12, s0
	v_ashrrev_i32_e32 v11, 31, v9
	v_add_nc_u32_e32 v12, 1, v10
	v_cmp_le_u32_e64 s0, s18, v4
	v_xor_b32_e32 v11, s20, v11
	v_cndmask_b32_e64 v4, v10, v12, s0
	v_xor_b32_e32 v4, v4, v11
	v_sub_nc_u32_e32 v10, v4, v11
	v_mov_b32_e32 v11, 0
	v_mov_b32_e32 v12, 0
	v_mul_lo_u32 v4, v10, s10
	v_sub_nc_u32_e32 v4, v9, v4
	s_waitcnt vmcnt(0)
	v_mad_u64_u32 v[13:14], null, v10, s8, v[4:5]
	v_cmp_gt_i32_e64 s0, s8, v4
	v_mov_b32_e32 v14, 0
	v_mov_b32_e32 v15, 0
	v_cmp_gt_i32_e64 s1, s9, v13
	v_cmp_lt_i32_e64 s2, -1, v13
	s_and_b32 s0, s0, s1
	s_and_b32 s0, s0, s2
	s_and_saveexec_b32 s1, s0
	s_cbranch_execz .LBB0_9
; %bb.8:                                ;   in Loop: Header=BB0_3 Depth=1
	v_mov_b32_e32 v14, v2
	v_lshlrev_b64 v[13:14], 3, v[13:14]
	v_add_co_u32 v13, s0, s14, v13
	v_add_co_ci_u32_e64 v14, null, s15, v14, s0
	global_load_dwordx2 v[14:15], v[13:14], off
.LBB0_9:                                ;   in Loop: Header=BB0_3 Depth=1
	s_or_b32 exec_lo, exec_lo, s1
	v_subrev_nc_u32_e32 v13, s16, v9
	v_sub_nc_u32_e32 v4, 0, v13
	v_max_i32_e32 v4, v13, v4
	v_mul_hi_u32 v10, v4, v116
	v_mul_lo_u32 v16, v10, s18
	v_sub_nc_u32_e32 v4, v4, v16
	v_add_nc_u32_e32 v16, 1, v10
	v_subrev_nc_u32_e32 v17, s18, v4
	v_cmp_le_u32_e64 s0, s18, v4
	v_cndmask_b32_e64 v10, v10, v16, s0
	v_cndmask_b32_e64 v4, v4, v17, s0
	v_ashrrev_i32_e32 v16, 31, v13
	v_add_nc_u32_e32 v17, 1, v10
	v_cmp_le_u32_e64 s0, s18, v4
	v_xor_b32_e32 v16, s20, v16
	v_cndmask_b32_e64 v4, v10, v17, s0
	v_xor_b32_e32 v4, v4, v16
	v_sub_nc_u32_e32 v10, v4, v16
	v_mul_lo_u32 v4, v10, s10
	v_sub_nc_u32_e32 v4, v13, v4
	v_mad_u64_u32 v[16:17], null, v10, s8, v[4:5]
	v_cmp_gt_i32_e64 s0, s8, v4
	v_cmp_gt_i32_e64 s1, s9, v16
	v_cmp_lt_i32_e64 s2, -1, v16
	s_and_b32 s0, s0, s1
	s_and_b32 s0, s0, s2
	s_and_saveexec_b32 s1, s0
	s_cbranch_execz .LBB0_11
; %bb.10:                               ;   in Loop: Header=BB0_3 Depth=1
	v_mov_b32_e32 v17, v2
	v_lshlrev_b64 v[10:11], 3, v[16:17]
	v_add_co_u32 v10, s0, s14, v10
	v_add_co_ci_u32_e64 v11, null, s15, v11, s0
	global_load_dwordx2 v[11:12], v[10:11], off
.LBB0_11:                               ;   in Loop: Header=BB0_3 Depth=1
	s_or_b32 exec_lo, exec_lo, s1
	v_subrev_nc_u32_e32 v16, s16, v13
	v_sub_nc_u32_e32 v4, 0, v16
	v_max_i32_e32 v4, v16, v4
	v_mul_hi_u32 v10, v4, v116
	v_mul_lo_u32 v17, v10, s18
	v_sub_nc_u32_e32 v4, v4, v17
	v_add_nc_u32_e32 v17, 1, v10
	v_subrev_nc_u32_e32 v18, s18, v4
	v_cmp_le_u32_e64 s0, s18, v4
	v_cndmask_b32_e64 v10, v10, v17, s0
	v_cndmask_b32_e64 v4, v4, v18, s0
	v_ashrrev_i32_e32 v17, 31, v16
	v_add_nc_u32_e32 v18, 1, v10
	v_cmp_le_u32_e64 s0, s18, v4
	v_xor_b32_e32 v17, s20, v17
	v_cndmask_b32_e64 v4, v10, v18, s0
	v_mov_b32_e32 v18, 0
	v_mov_b32_e32 v19, 0
	v_xor_b32_e32 v4, v4, v17
	v_sub_nc_u32_e32 v10, v4, v17
	v_mul_lo_u32 v4, v10, s10
	v_sub_nc_u32_e32 v4, v16, v4
	v_mad_u64_u32 v[20:21], null, v10, s8, v[4:5]
	v_cmp_gt_i32_e64 s0, s8, v4
	v_mov_b32_e32 v21, 0
	v_mov_b32_e32 v22, 0
	v_cmp_gt_i32_e64 s1, s9, v20
	v_cmp_lt_i32_e64 s2, -1, v20
	s_and_b32 s0, s0, s1
	s_and_b32 s0, s0, s2
	s_and_saveexec_b32 s1, s0
	s_cbranch_execz .LBB0_13
; %bb.12:                               ;   in Loop: Header=BB0_3 Depth=1
	v_mov_b32_e32 v21, v2
	v_lshlrev_b64 v[20:21], 3, v[20:21]
	v_add_co_u32 v20, s0, s14, v20
	v_add_co_ci_u32_e64 v21, null, s15, v21, s0
	global_load_dwordx2 v[21:22], v[20:21], off
.LBB0_13:                               ;   in Loop: Header=BB0_3 Depth=1
	s_or_b32 exec_lo, exec_lo, s1
	v_subrev_nc_u32_e32 v20, s16, v16
	v_sub_nc_u32_e32 v4, 0, v20
	v_max_i32_e32 v4, v20, v4
	v_mul_hi_u32 v10, v4, v116
	v_mul_lo_u32 v17, v10, s18
	v_sub_nc_u32_e32 v4, v4, v17
	v_add_nc_u32_e32 v17, 1, v10
	v_subrev_nc_u32_e32 v23, s18, v4
	v_cmp_le_u32_e64 s0, s18, v4
	v_cndmask_b32_e64 v10, v10, v17, s0
	v_cndmask_b32_e64 v4, v4, v23, s0
	v_ashrrev_i32_e32 v17, 31, v20
	v_add_nc_u32_e32 v23, 1, v10
	v_cmp_le_u32_e64 s0, s18, v4
	v_xor_b32_e32 v17, s20, v17
	v_cndmask_b32_e64 v4, v10, v23, s0
	v_xor_b32_e32 v4, v4, v17
	v_sub_nc_u32_e32 v10, v4, v17
	v_mul_lo_u32 v4, v10, s10
	v_sub_nc_u32_e32 v4, v20, v4
	v_mad_u64_u32 v[23:24], null, v10, s8, v[4:5]
	v_cmp_gt_i32_e64 s0, s8, v4
	v_cmp_gt_i32_e64 s1, s9, v23
	v_cmp_lt_i32_e64 s2, -1, v23
	s_and_b32 s0, s0, s1
	s_and_b32 s0, s0, s2
	s_and_saveexec_b32 s1, s0
	s_cbranch_execz .LBB0_15
; %bb.14:                               ;   in Loop: Header=BB0_3 Depth=1
	v_mov_b32_e32 v24, v2
	v_lshlrev_b64 v[17:18], 3, v[23:24]
	v_add_co_u32 v17, s0, s14, v17
	v_add_co_ci_u32_e64 v18, null, s15, v18, s0
	global_load_dwordx2 v[18:19], v[17:18], off
.LBB0_15:                               ;   in Loop: Header=BB0_3 Depth=1
	s_or_b32 exec_lo, exec_lo, s1
	v_subrev_nc_u32_e32 v23, s16, v20
	v_mov_b32_e32 v25, 0
	v_mov_b32_e32 v26, 0
	v_sub_nc_u32_e32 v4, 0, v23
	v_max_i32_e32 v4, v23, v4
	v_mul_hi_u32 v10, v4, v116
	v_mul_lo_u32 v17, v10, s18
	v_sub_nc_u32_e32 v4, v4, v17
	v_add_nc_u32_e32 v17, 1, v10
	v_subrev_nc_u32_e32 v24, s18, v4
	v_cmp_le_u32_e64 s0, s18, v4
	v_cndmask_b32_e64 v10, v10, v17, s0
	v_cndmask_b32_e64 v4, v4, v24, s0
	v_ashrrev_i32_e32 v17, 31, v23
	v_add_nc_u32_e32 v24, 1, v10
	v_cmp_le_u32_e64 s0, s18, v4
	v_xor_b32_e32 v17, s20, v17
	v_cndmask_b32_e64 v4, v10, v24, s0
	v_xor_b32_e32 v4, v4, v17
	v_sub_nc_u32_e32 v10, v4, v17
	v_mul_lo_u32 v4, v10, s10
	v_sub_nc_u32_e32 v4, v23, v4
	v_mad_u64_u32 v[27:28], null, v10, s8, v[4:5]
	v_cmp_gt_i32_e64 s0, s8, v4
	v_mov_b32_e32 v28, 0
	v_mov_b32_e32 v29, 0
	v_cmp_gt_i32_e64 s1, s9, v27
	v_cmp_lt_i32_e64 s2, -1, v27
	s_and_b32 s0, s0, s1
	s_and_b32 s0, s0, s2
	s_and_saveexec_b32 s1, s0
	s_cbranch_execz .LBB0_17
; %bb.16:                               ;   in Loop: Header=BB0_3 Depth=1
	v_mov_b32_e32 v28, v2
	v_lshlrev_b64 v[27:28], 3, v[27:28]
	v_add_co_u32 v27, s0, s14, v27
	v_add_co_ci_u32_e64 v28, null, s15, v28, s0
	global_load_dwordx2 v[28:29], v[27:28], off
.LBB0_17:                               ;   in Loop: Header=BB0_3 Depth=1
	s_or_b32 exec_lo, exec_lo, s1
	v_subrev_nc_u32_e32 v27, s16, v23
	v_sub_nc_u32_e32 v4, 0, v27
	v_max_i32_e32 v4, v27, v4
	v_mul_hi_u32 v10, v4, v116
	v_mul_lo_u32 v17, v10, s18
	v_sub_nc_u32_e32 v4, v4, v17
	v_add_nc_u32_e32 v17, 1, v10
	v_subrev_nc_u32_e32 v24, s18, v4
	v_cmp_le_u32_e64 s0, s18, v4
	v_cndmask_b32_e64 v10, v10, v17, s0
	v_cndmask_b32_e64 v4, v4, v24, s0
	v_ashrrev_i32_e32 v17, 31, v27
	v_add_nc_u32_e32 v24, 1, v10
	v_cmp_le_u32_e64 s0, s18, v4
	v_xor_b32_e32 v17, s20, v17
	v_cndmask_b32_e64 v4, v10, v24, s0
	v_xor_b32_e32 v4, v4, v17
	v_sub_nc_u32_e32 v10, v4, v17
	v_mul_lo_u32 v4, v10, s10
	v_sub_nc_u32_e32 v4, v27, v4
	v_mad_u64_u32 v[30:31], null, v10, s8, v[4:5]
	v_cmp_gt_i32_e64 s0, s8, v4
	v_cmp_gt_i32_e64 s1, s9, v30
	v_cmp_lt_i32_e64 s2, -1, v30
	s_and_b32 s0, s0, s1
	s_and_b32 s0, s0, s2
	s_and_saveexec_b32 s1, s0
	s_cbranch_execz .LBB0_19
; %bb.18:                               ;   in Loop: Header=BB0_3 Depth=1
	v_mov_b32_e32 v31, v2
	v_lshlrev_b64 v[24:25], 3, v[30:31]
	v_add_co_u32 v24, s0, s14, v24
	v_add_co_ci_u32_e64 v25, null, s15, v25, s0
	global_load_dwordx2 v[25:26], v[24:25], off
.LBB0_19:                               ;   in Loop: Header=BB0_3 Depth=1
	s_or_b32 exec_lo, exec_lo, s1
	v_subrev_nc_u32_e32 v30, s16, v27
	v_mov_b32_e32 v32, 0
	v_mov_b32_e32 v33, 0
	v_sub_nc_u32_e32 v4, 0, v30
	v_max_i32_e32 v4, v30, v4
	v_mul_hi_u32 v10, v4, v116
	v_mul_lo_u32 v17, v10, s18
	v_sub_nc_u32_e32 v4, v4, v17
	v_add_nc_u32_e32 v17, 1, v10
	v_subrev_nc_u32_e32 v24, s18, v4
	v_cmp_le_u32_e64 s0, s18, v4
	v_cndmask_b32_e64 v10, v10, v17, s0
	v_cndmask_b32_e64 v4, v4, v24, s0
	v_ashrrev_i32_e32 v17, 31, v30
	v_add_nc_u32_e32 v24, 1, v10
	v_cmp_le_u32_e64 s0, s18, v4
	v_xor_b32_e32 v17, s20, v17
	v_cndmask_b32_e64 v4, v10, v24, s0
	v_xor_b32_e32 v4, v4, v17
	v_sub_nc_u32_e32 v10, v4, v17
	v_mul_lo_u32 v4, v10, s10
	v_sub_nc_u32_e32 v4, v30, v4
	v_mad_u64_u32 v[34:35], null, v10, s8, v[4:5]
	v_cmp_gt_i32_e64 s0, s8, v4
	v_mov_b32_e32 v35, 0
	v_mov_b32_e32 v36, 0
	v_cmp_gt_i32_e64 s1, s9, v34
	v_cmp_lt_i32_e64 s2, -1, v34
	s_and_b32 s0, s0, s1
	s_and_b32 s0, s0, s2
	s_and_saveexec_b32 s1, s0
	s_cbranch_execz .LBB0_21
; %bb.20:                               ;   in Loop: Header=BB0_3 Depth=1
	v_mov_b32_e32 v35, v2
	v_lshlrev_b64 v[34:35], 3, v[34:35]
	v_add_co_u32 v34, s0, s14, v34
	v_add_co_ci_u32_e64 v35, null, s15, v35, s0
	global_load_dwordx2 v[35:36], v[34:35], off
.LBB0_21:                               ;   in Loop: Header=BB0_3 Depth=1
	s_or_b32 exec_lo, exec_lo, s1
	v_subrev_nc_u32_e32 v34, s16, v30
	v_sub_nc_u32_e32 v4, 0, v34
	v_max_i32_e32 v4, v34, v4
	v_mul_hi_u32 v10, v4, v116
	v_mul_lo_u32 v17, v10, s18
	v_sub_nc_u32_e32 v4, v4, v17
	v_add_nc_u32_e32 v17, 1, v10
	v_subrev_nc_u32_e32 v24, s18, v4
	v_cmp_le_u32_e64 s0, s18, v4
	v_cndmask_b32_e64 v10, v10, v17, s0
	v_cndmask_b32_e64 v4, v4, v24, s0
	v_ashrrev_i32_e32 v17, 31, v34
	v_add_nc_u32_e32 v24, 1, v10
	v_cmp_le_u32_e64 s0, s18, v4
	v_xor_b32_e32 v17, s20, v17
	v_cndmask_b32_e64 v4, v10, v24, s0
	v_xor_b32_e32 v4, v4, v17
	v_sub_nc_u32_e32 v10, v4, v17
	v_mul_lo_u32 v4, v10, s10
	v_sub_nc_u32_e32 v4, v34, v4
	v_mad_u64_u32 v[37:38], null, v10, s8, v[4:5]
	v_cmp_gt_i32_e64 s0, s8, v4
	v_cmp_gt_i32_e64 s1, s9, v37
	v_cmp_lt_i32_e64 s2, -1, v37
	s_and_b32 s0, s0, s1
	s_and_b32 s0, s0, s2
	s_and_saveexec_b32 s1, s0
	s_cbranch_execz .LBB0_23
; %bb.22:                               ;   in Loop: Header=BB0_3 Depth=1
	v_mov_b32_e32 v38, v2
	v_lshlrev_b64 v[31:32], 3, v[37:38]
	v_add_co_u32 v31, s0, s14, v31
	v_add_co_ci_u32_e64 v32, null, s15, v32, s0
	global_load_dwordx2 v[32:33], v[31:32], off
.LBB0_23:                               ;   in Loop: Header=BB0_3 Depth=1
	s_or_b32 exec_lo, exec_lo, s1
	v_subrev_nc_u32_e32 v37, s16, v34
	v_mov_b32_e32 v39, 0
	v_mov_b32_e32 v40, 0
	v_sub_nc_u32_e32 v4, 0, v37
	v_max_i32_e32 v4, v37, v4
	v_mul_hi_u32 v10, v4, v116
	v_mul_lo_u32 v17, v10, s18
	v_sub_nc_u32_e32 v4, v4, v17
	v_add_nc_u32_e32 v17, 1, v10
	v_subrev_nc_u32_e32 v24, s18, v4
	v_cmp_le_u32_e64 s0, s18, v4
	v_cndmask_b32_e64 v10, v10, v17, s0
	v_cndmask_b32_e64 v4, v4, v24, s0
	v_ashrrev_i32_e32 v17, 31, v37
	v_add_nc_u32_e32 v24, 1, v10
	v_cmp_le_u32_e64 s0, s18, v4
	v_xor_b32_e32 v17, s20, v17
	v_cndmask_b32_e64 v4, v10, v24, s0
	v_xor_b32_e32 v4, v4, v17
	v_sub_nc_u32_e32 v10, v4, v17
	v_mul_lo_u32 v4, v10, s10
	v_sub_nc_u32_e32 v4, v37, v4
	v_mad_u64_u32 v[41:42], null, v10, s8, v[4:5]
	v_cmp_gt_i32_e64 s0, s8, v4
	v_mov_b32_e32 v42, 0
	v_mov_b32_e32 v43, 0
	v_cmp_gt_i32_e64 s1, s9, v41
	v_cmp_lt_i32_e64 s2, -1, v41
	s_and_b32 s0, s0, s1
	s_and_b32 s0, s0, s2
	s_and_saveexec_b32 s1, s0
	s_cbranch_execz .LBB0_25
; %bb.24:                               ;   in Loop: Header=BB0_3 Depth=1
	v_mov_b32_e32 v42, v2
	v_lshlrev_b64 v[41:42], 3, v[41:42]
	v_add_co_u32 v41, s0, s14, v41
	v_add_co_ci_u32_e64 v42, null, s15, v42, s0
	global_load_dwordx2 v[42:43], v[41:42], off
.LBB0_25:                               ;   in Loop: Header=BB0_3 Depth=1
	s_or_b32 exec_lo, exec_lo, s1
	v_subrev_nc_u32_e32 v41, s16, v37
	v_sub_nc_u32_e32 v4, 0, v41
	v_max_i32_e32 v4, v41, v4
	v_mul_hi_u32 v10, v4, v116
	v_mul_lo_u32 v17, v10, s18
	v_sub_nc_u32_e32 v4, v4, v17
	v_add_nc_u32_e32 v17, 1, v10
	v_subrev_nc_u32_e32 v24, s18, v4
	v_cmp_le_u32_e64 s0, s18, v4
	v_cndmask_b32_e64 v10, v10, v17, s0
	v_cndmask_b32_e64 v4, v4, v24, s0
	v_ashrrev_i32_e32 v17, 31, v41
	v_add_nc_u32_e32 v24, 1, v10
	v_cmp_le_u32_e64 s0, s18, v4
	v_xor_b32_e32 v17, s20, v17
	v_cndmask_b32_e64 v4, v10, v24, s0
	v_xor_b32_e32 v4, v4, v17
	v_sub_nc_u32_e32 v10, v4, v17
	v_mul_lo_u32 v4, v10, s10
	v_sub_nc_u32_e32 v4, v41, v4
	v_mad_u64_u32 v[44:45], null, v10, s8, v[4:5]
	v_cmp_gt_i32_e64 s0, s8, v4
	v_cmp_gt_i32_e64 s1, s9, v44
	v_cmp_lt_i32_e64 s2, -1, v44
	s_and_b32 s0, s0, s1
	s_and_b32 s0, s0, s2
	s_and_saveexec_b32 s1, s0
	s_cbranch_execz .LBB0_27
; %bb.26:                               ;   in Loop: Header=BB0_3 Depth=1
	v_mov_b32_e32 v45, v2
	v_lshlrev_b64 v[38:39], 3, v[44:45]
	v_add_co_u32 v38, s0, s14, v38
	v_add_co_ci_u32_e64 v39, null, s15, v39, s0
	global_load_dwordx2 v[39:40], v[38:39], off
.LBB0_27:                               ;   in Loop: Header=BB0_3 Depth=1
	s_or_b32 exec_lo, exec_lo, s1
	v_subrev_nc_u32_e32 v44, s16, v41
	v_mov_b32_e32 v46, 0
	v_mov_b32_e32 v47, 0
	v_sub_nc_u32_e32 v4, 0, v44
	v_max_i32_e32 v4, v44, v4
	v_mul_hi_u32 v10, v4, v116
	v_mul_lo_u32 v17, v10, s18
	v_sub_nc_u32_e32 v4, v4, v17
	v_add_nc_u32_e32 v17, 1, v10
	v_subrev_nc_u32_e32 v24, s18, v4
	v_cmp_le_u32_e64 s0, s18, v4
	v_cndmask_b32_e64 v10, v10, v17, s0
	v_cndmask_b32_e64 v4, v4, v24, s0
	v_ashrrev_i32_e32 v17, 31, v44
	v_add_nc_u32_e32 v24, 1, v10
	v_cmp_le_u32_e64 s0, s18, v4
	v_xor_b32_e32 v17, s20, v17
	v_cndmask_b32_e64 v4, v10, v24, s0
	v_xor_b32_e32 v4, v4, v17
	v_sub_nc_u32_e32 v10, v4, v17
	v_mul_lo_u32 v4, v10, s10
	v_sub_nc_u32_e32 v4, v44, v4
	v_mad_u64_u32 v[48:49], null, v10, s8, v[4:5]
	v_cmp_gt_i32_e64 s0, s8, v4
	v_mov_b32_e32 v49, 0
	v_mov_b32_e32 v50, 0
	v_cmp_gt_i32_e64 s1, s9, v48
	v_cmp_lt_i32_e64 s2, -1, v48
	s_and_b32 s0, s0, s1
	s_and_b32 s0, s0, s2
	s_and_saveexec_b32 s1, s0
	s_cbranch_execz .LBB0_29
; %bb.28:                               ;   in Loop: Header=BB0_3 Depth=1
	v_mov_b32_e32 v49, v2
	v_lshlrev_b64 v[48:49], 3, v[48:49]
	v_add_co_u32 v48, s0, s14, v48
	v_add_co_ci_u32_e64 v49, null, s15, v49, s0
	global_load_dwordx2 v[49:50], v[48:49], off
.LBB0_29:                               ;   in Loop: Header=BB0_3 Depth=1
	s_or_b32 exec_lo, exec_lo, s1
	v_subrev_nc_u32_e32 v48, s16, v44
	v_sub_nc_u32_e32 v4, 0, v48
	v_max_i32_e32 v4, v48, v4
	v_mul_hi_u32 v10, v4, v116
	v_mul_lo_u32 v17, v10, s18
	v_sub_nc_u32_e32 v4, v4, v17
	v_add_nc_u32_e32 v17, 1, v10
	v_subrev_nc_u32_e32 v24, s18, v4
	v_cmp_le_u32_e64 s0, s18, v4
	v_cndmask_b32_e64 v10, v10, v17, s0
	v_cndmask_b32_e64 v4, v4, v24, s0
	v_ashrrev_i32_e32 v17, 31, v48
	v_add_nc_u32_e32 v24, 1, v10
	v_cmp_le_u32_e64 s0, s18, v4
	v_xor_b32_e32 v17, s20, v17
	v_cndmask_b32_e64 v4, v10, v24, s0
	v_xor_b32_e32 v4, v4, v17
	v_sub_nc_u32_e32 v10, v4, v17
	v_mul_lo_u32 v4, v10, s10
	v_sub_nc_u32_e32 v4, v48, v4
	v_mad_u64_u32 v[51:52], null, v10, s8, v[4:5]
	v_cmp_gt_i32_e64 s0, s8, v4
	v_cmp_gt_i32_e64 s1, s9, v51
	v_cmp_lt_i32_e64 s2, -1, v51
	s_and_b32 s0, s0, s1
	s_and_b32 s0, s0, s2
	s_and_saveexec_b32 s1, s0
	s_cbranch_execz .LBB0_31
; %bb.30:                               ;   in Loop: Header=BB0_3 Depth=1
	v_mov_b32_e32 v52, v2
	v_lshlrev_b64 v[45:46], 3, v[51:52]
	v_add_co_u32 v45, s0, s14, v45
	v_add_co_ci_u32_e64 v46, null, s15, v46, s0
	global_load_dwordx2 v[46:47], v[45:46], off
.LBB0_31:                               ;   in Loop: Header=BB0_3 Depth=1
	s_or_b32 exec_lo, exec_lo, s1
	v_subrev_nc_u32_e32 v51, s16, v48
	v_mov_b32_e32 v53, 0
	v_mov_b32_e32 v54, 0
	v_sub_nc_u32_e32 v4, 0, v51
	v_max_i32_e32 v4, v51, v4
	v_mul_hi_u32 v10, v4, v116
	v_mul_lo_u32 v17, v10, s18
	v_sub_nc_u32_e32 v4, v4, v17
	v_add_nc_u32_e32 v17, 1, v10
	v_subrev_nc_u32_e32 v24, s18, v4
	v_cmp_le_u32_e64 s0, s18, v4
	v_cndmask_b32_e64 v10, v10, v17, s0
	v_cndmask_b32_e64 v4, v4, v24, s0
	v_ashrrev_i32_e32 v17, 31, v51
	v_add_nc_u32_e32 v24, 1, v10
	v_cmp_le_u32_e64 s0, s18, v4
	v_xor_b32_e32 v17, s20, v17
	v_cndmask_b32_e64 v4, v10, v24, s0
	v_xor_b32_e32 v4, v4, v17
	v_sub_nc_u32_e32 v10, v4, v17
	v_mul_lo_u32 v4, v10, s10
	v_sub_nc_u32_e32 v4, v51, v4
	v_mad_u64_u32 v[55:56], null, v10, s8, v[4:5]
	v_cmp_gt_i32_e64 s0, s8, v4
	v_mov_b32_e32 v56, 0
	v_mov_b32_e32 v57, 0
	v_cmp_gt_i32_e64 s1, s9, v55
	v_cmp_lt_i32_e64 s2, -1, v55
	s_and_b32 s0, s0, s1
	s_and_b32 s0, s0, s2
	s_and_saveexec_b32 s1, s0
	s_cbranch_execz .LBB0_33
; %bb.32:                               ;   in Loop: Header=BB0_3 Depth=1
	v_mov_b32_e32 v56, v2
	v_lshlrev_b64 v[55:56], 3, v[55:56]
	v_add_co_u32 v55, s0, s14, v55
	v_add_co_ci_u32_e64 v56, null, s15, v56, s0
	global_load_dwordx2 v[56:57], v[55:56], off
.LBB0_33:                               ;   in Loop: Header=BB0_3 Depth=1
	s_or_b32 exec_lo, exec_lo, s1
	v_subrev_nc_u32_e32 v55, s16, v51
	v_sub_nc_u32_e32 v4, 0, v55
	v_max_i32_e32 v4, v55, v4
	v_mul_hi_u32 v10, v4, v116
	v_mul_lo_u32 v17, v10, s18
	v_sub_nc_u32_e32 v4, v4, v17
	v_add_nc_u32_e32 v17, 1, v10
	v_subrev_nc_u32_e32 v24, s18, v4
	v_cmp_le_u32_e64 s0, s18, v4
	v_cndmask_b32_e64 v10, v10, v17, s0
	v_cndmask_b32_e64 v4, v4, v24, s0
	v_ashrrev_i32_e32 v17, 31, v55
	v_add_nc_u32_e32 v24, 1, v10
	v_cmp_le_u32_e64 s0, s18, v4
	v_xor_b32_e32 v17, s20, v17
	v_cndmask_b32_e64 v4, v10, v24, s0
	v_xor_b32_e32 v4, v4, v17
	v_sub_nc_u32_e32 v10, v4, v17
	v_mul_lo_u32 v4, v10, s10
	v_sub_nc_u32_e32 v4, v55, v4
	v_mad_u64_u32 v[58:59], null, v10, s8, v[4:5]
	v_cmp_gt_i32_e64 s0, s8, v4
	v_cmp_gt_i32_e64 s1, s9, v58
	v_cmp_lt_i32_e64 s2, -1, v58
	s_and_b32 s0, s0, s1
	s_and_b32 s0, s0, s2
	s_and_saveexec_b32 s1, s0
	s_cbranch_execz .LBB0_35
; %bb.34:                               ;   in Loop: Header=BB0_3 Depth=1
	v_mov_b32_e32 v59, v2
	v_lshlrev_b64 v[52:53], 3, v[58:59]
	v_add_co_u32 v52, s0, s14, v52
	v_add_co_ci_u32_e64 v53, null, s15, v53, s0
	global_load_dwordx2 v[53:54], v[52:53], off
.LBB0_35:                               ;   in Loop: Header=BB0_3 Depth=1
	s_or_b32 exec_lo, exec_lo, s1
	v_subrev_nc_u32_e32 v58, s16, v55
	v_mov_b32_e32 v60, 0
	v_mov_b32_e32 v61, 0
	v_sub_nc_u32_e32 v4, 0, v58
	v_max_i32_e32 v4, v58, v4
	v_mul_hi_u32 v10, v4, v116
	v_mul_lo_u32 v17, v10, s18
	v_sub_nc_u32_e32 v4, v4, v17
	v_add_nc_u32_e32 v17, 1, v10
	v_subrev_nc_u32_e32 v24, s18, v4
	v_cmp_le_u32_e64 s0, s18, v4
	v_cndmask_b32_e64 v10, v10, v17, s0
	v_cndmask_b32_e64 v4, v4, v24, s0
	v_ashrrev_i32_e32 v17, 31, v58
	v_add_nc_u32_e32 v24, 1, v10
	v_cmp_le_u32_e64 s0, s18, v4
	v_xor_b32_e32 v17, s20, v17
	v_cndmask_b32_e64 v4, v10, v24, s0
	v_xor_b32_e32 v4, v4, v17
	v_sub_nc_u32_e32 v10, v4, v17
	v_mul_lo_u32 v4, v10, s10
	v_sub_nc_u32_e32 v4, v58, v4
	v_mad_u64_u32 v[62:63], null, v10, s8, v[4:5]
	v_cmp_gt_i32_e64 s0, s8, v4
	v_mov_b32_e32 v63, 0
	v_mov_b32_e32 v64, 0
	v_cmp_gt_i32_e64 s1, s9, v62
	v_cmp_lt_i32_e64 s2, -1, v62
	s_and_b32 s0, s0, s1
	s_and_b32 s0, s0, s2
	s_and_saveexec_b32 s1, s0
	s_cbranch_execz .LBB0_37
; %bb.36:                               ;   in Loop: Header=BB0_3 Depth=1
	v_mov_b32_e32 v63, v2
	v_lshlrev_b64 v[62:63], 3, v[62:63]
	v_add_co_u32 v62, s0, s14, v62
	v_add_co_ci_u32_e64 v63, null, s15, v63, s0
	global_load_dwordx2 v[63:64], v[62:63], off
.LBB0_37:                               ;   in Loop: Header=BB0_3 Depth=1
	s_or_b32 exec_lo, exec_lo, s1
	v_subrev_nc_u32_e32 v62, s16, v58
	v_sub_nc_u32_e32 v4, 0, v62
	v_max_i32_e32 v4, v62, v4
	v_mul_hi_u32 v10, v4, v116
	v_mul_lo_u32 v17, v10, s18
	v_sub_nc_u32_e32 v4, v4, v17
	v_add_nc_u32_e32 v17, 1, v10
	v_subrev_nc_u32_e32 v24, s18, v4
	v_cmp_le_u32_e64 s0, s18, v4
	v_cndmask_b32_e64 v10, v10, v17, s0
	v_cndmask_b32_e64 v4, v4, v24, s0
	v_ashrrev_i32_e32 v17, 31, v62
	v_add_nc_u32_e32 v24, 1, v10
	v_cmp_le_u32_e64 s0, s18, v4
	v_xor_b32_e32 v17, s20, v17
	v_cndmask_b32_e64 v4, v10, v24, s0
	v_xor_b32_e32 v4, v4, v17
	v_sub_nc_u32_e32 v10, v4, v17
	v_mul_lo_u32 v4, v10, s10
	v_sub_nc_u32_e32 v4, v62, v4
	v_mad_u64_u32 v[65:66], null, v10, s8, v[4:5]
	v_cmp_gt_i32_e64 s0, s8, v4
	v_cmp_gt_i32_e64 s1, s9, v65
	v_cmp_lt_i32_e64 s2, -1, v65
	s_and_b32 s0, s0, s1
	s_and_b32 s0, s0, s2
	s_and_saveexec_b32 s1, s0
	s_cbranch_execz .LBB0_39
; %bb.38:                               ;   in Loop: Header=BB0_3 Depth=1
	v_mov_b32_e32 v66, v2
	v_lshlrev_b64 v[59:60], 3, v[65:66]
	v_add_co_u32 v59, s0, s14, v59
	v_add_co_ci_u32_e64 v60, null, s15, v60, s0
	global_load_dwordx2 v[60:61], v[59:60], off
.LBB0_39:                               ;   in Loop: Header=BB0_3 Depth=1
	s_or_b32 exec_lo, exec_lo, s1
	v_subrev_nc_u32_e32 v65, s16, v62
	v_mov_b32_e32 v67, 0
	v_mov_b32_e32 v68, 0
	v_sub_nc_u32_e32 v4, 0, v65
	v_max_i32_e32 v4, v65, v4
	v_mul_hi_u32 v10, v4, v116
	v_mul_lo_u32 v17, v10, s18
	v_sub_nc_u32_e32 v4, v4, v17
	v_add_nc_u32_e32 v17, 1, v10
	v_subrev_nc_u32_e32 v24, s18, v4
	v_cmp_le_u32_e64 s0, s18, v4
	v_cndmask_b32_e64 v10, v10, v17, s0
	v_cndmask_b32_e64 v4, v4, v24, s0
	v_ashrrev_i32_e32 v17, 31, v65
	v_add_nc_u32_e32 v24, 1, v10
	v_cmp_le_u32_e64 s0, s18, v4
	v_xor_b32_e32 v17, s20, v17
	v_cndmask_b32_e64 v4, v10, v24, s0
	v_xor_b32_e32 v4, v4, v17
	v_sub_nc_u32_e32 v10, v4, v17
	v_mul_lo_u32 v4, v10, s10
	v_sub_nc_u32_e32 v4, v65, v4
	v_mad_u64_u32 v[69:70], null, v10, s8, v[4:5]
	v_cmp_gt_i32_e64 s0, s8, v4
	v_mov_b32_e32 v70, 0
	v_mov_b32_e32 v71, 0
	v_cmp_gt_i32_e64 s1, s9, v69
	v_cmp_lt_i32_e64 s2, -1, v69
	s_and_b32 s0, s0, s1
	s_and_b32 s0, s0, s2
	s_and_saveexec_b32 s1, s0
	s_cbranch_execz .LBB0_41
; %bb.40:                               ;   in Loop: Header=BB0_3 Depth=1
	v_mov_b32_e32 v70, v2
	v_lshlrev_b64 v[69:70], 3, v[69:70]
	v_add_co_u32 v69, s0, s14, v69
	v_add_co_ci_u32_e64 v70, null, s15, v70, s0
	global_load_dwordx2 v[70:71], v[69:70], off
.LBB0_41:                               ;   in Loop: Header=BB0_3 Depth=1
	s_or_b32 exec_lo, exec_lo, s1
	v_subrev_nc_u32_e32 v69, s16, v65
	v_sub_nc_u32_e32 v4, 0, v69
	v_max_i32_e32 v4, v69, v4
	v_mul_hi_u32 v10, v4, v116
	v_mul_lo_u32 v17, v10, s18
	v_sub_nc_u32_e32 v4, v4, v17
	v_add_nc_u32_e32 v17, 1, v10
	v_subrev_nc_u32_e32 v24, s18, v4
	v_cmp_le_u32_e64 s0, s18, v4
	v_cndmask_b32_e64 v10, v10, v17, s0
	v_cndmask_b32_e64 v4, v4, v24, s0
	v_ashrrev_i32_e32 v17, 31, v69
	v_add_nc_u32_e32 v24, 1, v10
	v_cmp_le_u32_e64 s0, s18, v4
	v_xor_b32_e32 v17, s20, v17
	v_cndmask_b32_e64 v4, v10, v24, s0
	v_xor_b32_e32 v4, v4, v17
	v_sub_nc_u32_e32 v10, v4, v17
	v_mul_lo_u32 v4, v10, s10
	v_sub_nc_u32_e32 v4, v69, v4
	v_mad_u64_u32 v[72:73], null, v10, s8, v[4:5]
	v_cmp_gt_i32_e64 s0, s8, v4
	v_cmp_gt_i32_e64 s1, s9, v72
	v_cmp_lt_i32_e64 s2, -1, v72
	s_and_b32 s0, s0, s1
	s_and_b32 s0, s0, s2
	s_and_saveexec_b32 s1, s0
	s_cbranch_execz .LBB0_43
; %bb.42:                               ;   in Loop: Header=BB0_3 Depth=1
	v_mov_b32_e32 v73, v2
	v_lshlrev_b64 v[66:67], 3, v[72:73]
	v_add_co_u32 v66, s0, s14, v66
	v_add_co_ci_u32_e64 v67, null, s15, v67, s0
	global_load_dwordx2 v[67:68], v[66:67], off
.LBB0_43:                               ;   in Loop: Header=BB0_3 Depth=1
	s_or_b32 exec_lo, exec_lo, s1
	v_subrev_nc_u32_e32 v72, s16, v69
	v_mov_b32_e32 v74, 0
	v_mov_b32_e32 v75, 0
	v_sub_nc_u32_e32 v4, 0, v72
	v_max_i32_e32 v4, v72, v4
	v_mul_hi_u32 v10, v4, v116
	v_mul_lo_u32 v17, v10, s18
	v_sub_nc_u32_e32 v4, v4, v17
	v_add_nc_u32_e32 v17, 1, v10
	v_subrev_nc_u32_e32 v24, s18, v4
	v_cmp_le_u32_e64 s0, s18, v4
	v_cndmask_b32_e64 v10, v10, v17, s0
	v_cndmask_b32_e64 v4, v4, v24, s0
	v_ashrrev_i32_e32 v17, 31, v72
	v_add_nc_u32_e32 v24, 1, v10
	v_cmp_le_u32_e64 s0, s18, v4
	v_xor_b32_e32 v17, s20, v17
	v_cndmask_b32_e64 v4, v10, v24, s0
	v_xor_b32_e32 v4, v4, v17
	v_sub_nc_u32_e32 v10, v4, v17
	v_mul_lo_u32 v4, v10, s10
	v_sub_nc_u32_e32 v4, v72, v4
	v_mad_u64_u32 v[76:77], null, v10, s8, v[4:5]
	v_cmp_gt_i32_e64 s0, s8, v4
	v_mov_b32_e32 v77, 0
	v_mov_b32_e32 v78, 0
	v_cmp_gt_i32_e64 s1, s9, v76
	v_cmp_lt_i32_e64 s2, -1, v76
	s_and_b32 s0, s0, s1
	s_and_b32 s0, s0, s2
	s_and_saveexec_b32 s1, s0
	s_cbranch_execz .LBB0_45
; %bb.44:                               ;   in Loop: Header=BB0_3 Depth=1
	v_mov_b32_e32 v77, v2
	v_lshlrev_b64 v[76:77], 3, v[76:77]
	v_add_co_u32 v76, s0, s14, v76
	v_add_co_ci_u32_e64 v77, null, s15, v77, s0
	global_load_dwordx2 v[77:78], v[76:77], off
.LBB0_45:                               ;   in Loop: Header=BB0_3 Depth=1
	s_or_b32 exec_lo, exec_lo, s1
	v_subrev_nc_u32_e32 v76, s16, v72
	v_sub_nc_u32_e32 v4, 0, v76
	v_max_i32_e32 v4, v76, v4
	v_mul_hi_u32 v10, v4, v116
	v_mul_lo_u32 v17, v10, s18
	v_sub_nc_u32_e32 v4, v4, v17
	v_add_nc_u32_e32 v17, 1, v10
	v_subrev_nc_u32_e32 v24, s18, v4
	v_cmp_le_u32_e64 s0, s18, v4
	v_cndmask_b32_e64 v10, v10, v17, s0
	v_cndmask_b32_e64 v4, v4, v24, s0
	v_ashrrev_i32_e32 v17, 31, v76
	v_add_nc_u32_e32 v24, 1, v10
	v_cmp_le_u32_e64 s0, s18, v4
	v_xor_b32_e32 v17, s20, v17
	v_cndmask_b32_e64 v4, v10, v24, s0
	v_xor_b32_e32 v4, v4, v17
	v_sub_nc_u32_e32 v10, v4, v17
	v_mul_lo_u32 v4, v10, s10
	v_sub_nc_u32_e32 v4, v76, v4
	v_mad_u64_u32 v[79:80], null, v10, s8, v[4:5]
	v_cmp_gt_i32_e64 s0, s8, v4
	v_cmp_gt_i32_e64 s1, s9, v79
	v_cmp_lt_i32_e64 s2, -1, v79
	s_and_b32 s0, s0, s1
	s_and_b32 s0, s0, s2
	s_and_saveexec_b32 s1, s0
	s_cbranch_execz .LBB0_47
; %bb.46:                               ;   in Loop: Header=BB0_3 Depth=1
	v_mov_b32_e32 v80, v2
	v_lshlrev_b64 v[73:74], 3, v[79:80]
	v_add_co_u32 v73, s0, s14, v73
	v_add_co_ci_u32_e64 v74, null, s15, v74, s0
	global_load_dwordx2 v[74:75], v[73:74], off
.LBB0_47:                               ;   in Loop: Header=BB0_3 Depth=1
	s_or_b32 exec_lo, exec_lo, s1
	v_subrev_nc_u32_e32 v79, s16, v76
	v_mov_b32_e32 v81, 0
	v_mov_b32_e32 v82, 0
	v_sub_nc_u32_e32 v4, 0, v79
	v_max_i32_e32 v4, v79, v4
	v_mul_hi_u32 v10, v4, v116
	v_mul_lo_u32 v17, v10, s18
	v_sub_nc_u32_e32 v4, v4, v17
	v_add_nc_u32_e32 v17, 1, v10
	v_subrev_nc_u32_e32 v24, s18, v4
	v_cmp_le_u32_e64 s0, s18, v4
	v_cndmask_b32_e64 v10, v10, v17, s0
	v_cndmask_b32_e64 v4, v4, v24, s0
	v_ashrrev_i32_e32 v17, 31, v79
	v_add_nc_u32_e32 v24, 1, v10
	v_cmp_le_u32_e64 s0, s18, v4
	v_xor_b32_e32 v17, s20, v17
	v_cndmask_b32_e64 v4, v10, v24, s0
	v_xor_b32_e32 v4, v4, v17
	v_sub_nc_u32_e32 v10, v4, v17
	v_mul_lo_u32 v4, v10, s10
	v_sub_nc_u32_e32 v4, v79, v4
	v_mad_u64_u32 v[83:84], null, v10, s8, v[4:5]
	v_cmp_gt_i32_e64 s0, s8, v4
	v_mov_b32_e32 v84, 0
	v_mov_b32_e32 v85, 0
	v_cmp_gt_i32_e64 s1, s9, v83
	v_cmp_lt_i32_e64 s2, -1, v83
	s_and_b32 s0, s0, s1
	s_and_b32 s0, s0, s2
	s_and_saveexec_b32 s1, s0
	s_cbranch_execz .LBB0_49
; %bb.48:                               ;   in Loop: Header=BB0_3 Depth=1
	v_mov_b32_e32 v84, v2
	v_lshlrev_b64 v[83:84], 3, v[83:84]
	v_add_co_u32 v83, s0, s14, v83
	v_add_co_ci_u32_e64 v84, null, s15, v84, s0
	global_load_dwordx2 v[84:85], v[83:84], off
.LBB0_49:                               ;   in Loop: Header=BB0_3 Depth=1
	s_or_b32 exec_lo, exec_lo, s1
	v_subrev_nc_u32_e32 v83, s16, v79
	v_sub_nc_u32_e32 v4, 0, v83
	v_max_i32_e32 v4, v83, v4
	v_mul_hi_u32 v10, v4, v116
	v_mul_lo_u32 v17, v10, s18
	v_sub_nc_u32_e32 v4, v4, v17
	v_add_nc_u32_e32 v17, 1, v10
	v_subrev_nc_u32_e32 v24, s18, v4
	v_cmp_le_u32_e64 s0, s18, v4
	v_cndmask_b32_e64 v10, v10, v17, s0
	v_cndmask_b32_e64 v4, v4, v24, s0
	v_ashrrev_i32_e32 v17, 31, v83
	v_add_nc_u32_e32 v24, 1, v10
	v_cmp_le_u32_e64 s0, s18, v4
	v_xor_b32_e32 v17, s20, v17
	v_cndmask_b32_e64 v4, v10, v24, s0
	v_xor_b32_e32 v4, v4, v17
	v_sub_nc_u32_e32 v10, v4, v17
	v_mul_lo_u32 v4, v10, s10
	v_sub_nc_u32_e32 v4, v83, v4
	v_mad_u64_u32 v[86:87], null, v10, s8, v[4:5]
	v_cmp_gt_i32_e64 s0, s8, v4
	v_cmp_gt_i32_e64 s1, s9, v86
	v_cmp_lt_i32_e64 s2, -1, v86
	s_and_b32 s0, s0, s1
	s_and_b32 s0, s0, s2
	s_and_saveexec_b32 s1, s0
	s_cbranch_execz .LBB0_51
; %bb.50:                               ;   in Loop: Header=BB0_3 Depth=1
	v_mov_b32_e32 v87, v2
	v_lshlrev_b64 v[80:81], 3, v[86:87]
	v_add_co_u32 v80, s0, s14, v80
	v_add_co_ci_u32_e64 v81, null, s15, v81, s0
	global_load_dwordx2 v[81:82], v[80:81], off
.LBB0_51:                               ;   in Loop: Header=BB0_3 Depth=1
	s_or_b32 exec_lo, exec_lo, s1
	v_subrev_nc_u32_e32 v86, s16, v83
	v_mov_b32_e32 v88, 0
	v_mov_b32_e32 v89, 0
	v_sub_nc_u32_e32 v4, 0, v86
	v_max_i32_e32 v4, v86, v4
	v_mul_hi_u32 v10, v4, v116
	v_mul_lo_u32 v17, v10, s18
	v_sub_nc_u32_e32 v4, v4, v17
	v_add_nc_u32_e32 v17, 1, v10
	v_subrev_nc_u32_e32 v24, s18, v4
	v_cmp_le_u32_e64 s0, s18, v4
	v_cndmask_b32_e64 v10, v10, v17, s0
	v_cndmask_b32_e64 v4, v4, v24, s0
	v_ashrrev_i32_e32 v17, 31, v86
	v_add_nc_u32_e32 v24, 1, v10
	v_cmp_le_u32_e64 s0, s18, v4
	v_xor_b32_e32 v17, s20, v17
	v_cndmask_b32_e64 v4, v10, v24, s0
	v_xor_b32_e32 v4, v4, v17
	v_sub_nc_u32_e32 v10, v4, v17
	v_mul_lo_u32 v4, v10, s10
	v_sub_nc_u32_e32 v4, v86, v4
	v_mad_u64_u32 v[90:91], null, v10, s8, v[4:5]
	v_cmp_gt_i32_e64 s0, s8, v4
	v_mov_b32_e32 v91, 0
	v_mov_b32_e32 v92, 0
	v_cmp_gt_i32_e64 s1, s9, v90
	v_cmp_lt_i32_e64 s2, -1, v90
	s_and_b32 s0, s0, s1
	s_and_b32 s0, s0, s2
	s_and_saveexec_b32 s1, s0
	s_cbranch_execz .LBB0_53
; %bb.52:                               ;   in Loop: Header=BB0_3 Depth=1
	v_mov_b32_e32 v91, v2
	v_lshlrev_b64 v[90:91], 3, v[90:91]
	v_add_co_u32 v90, s0, s14, v90
	v_add_co_ci_u32_e64 v91, null, s15, v91, s0
	global_load_dwordx2 v[91:92], v[90:91], off
.LBB0_53:                               ;   in Loop: Header=BB0_3 Depth=1
	s_or_b32 exec_lo, exec_lo, s1
	v_subrev_nc_u32_e32 v90, s16, v86
	v_sub_nc_u32_e32 v4, 0, v90
	v_max_i32_e32 v4, v90, v4
	v_mul_hi_u32 v10, v4, v116
	v_mul_lo_u32 v17, v10, s18
	v_sub_nc_u32_e32 v4, v4, v17
	v_add_nc_u32_e32 v17, 1, v10
	v_subrev_nc_u32_e32 v24, s18, v4
	v_cmp_le_u32_e64 s0, s18, v4
	v_cndmask_b32_e64 v10, v10, v17, s0
	v_cndmask_b32_e64 v4, v4, v24, s0
	v_ashrrev_i32_e32 v17, 31, v90
	v_add_nc_u32_e32 v24, 1, v10
	v_cmp_le_u32_e64 s0, s18, v4
	v_xor_b32_e32 v17, s20, v17
	v_cndmask_b32_e64 v4, v10, v24, s0
	v_xor_b32_e32 v4, v4, v17
	v_sub_nc_u32_e32 v10, v4, v17
	v_mul_lo_u32 v4, v10, s10
	v_sub_nc_u32_e32 v4, v90, v4
	v_mad_u64_u32 v[93:94], null, v10, s8, v[4:5]
	v_cmp_gt_i32_e64 s0, s8, v4
	v_cmp_gt_i32_e64 s1, s9, v93
	v_cmp_lt_i32_e64 s2, -1, v93
	s_and_b32 s0, s0, s1
	s_and_b32 s0, s0, s2
	s_and_saveexec_b32 s1, s0
	s_cbranch_execz .LBB0_55
; %bb.54:                               ;   in Loop: Header=BB0_3 Depth=1
	v_mov_b32_e32 v94, v2
	v_lshlrev_b64 v[87:88], 3, v[93:94]
	v_add_co_u32 v87, s0, s14, v87
	v_add_co_ci_u32_e64 v88, null, s15, v88, s0
	global_load_dwordx2 v[88:89], v[87:88], off
.LBB0_55:                               ;   in Loop: Header=BB0_3 Depth=1
	s_or_b32 exec_lo, exec_lo, s1
	v_subrev_nc_u32_e32 v93, s16, v90
	v_mov_b32_e32 v95, 0
	v_mov_b32_e32 v96, 0
	v_sub_nc_u32_e32 v4, 0, v93
	v_max_i32_e32 v4, v93, v4
	v_mul_hi_u32 v10, v4, v116
	v_mul_lo_u32 v17, v10, s18
	v_sub_nc_u32_e32 v4, v4, v17
	v_add_nc_u32_e32 v17, 1, v10
	v_subrev_nc_u32_e32 v24, s18, v4
	v_cmp_le_u32_e64 s0, s18, v4
	v_cndmask_b32_e64 v10, v10, v17, s0
	v_cndmask_b32_e64 v4, v4, v24, s0
	v_ashrrev_i32_e32 v17, 31, v93
	v_add_nc_u32_e32 v24, 1, v10
	v_cmp_le_u32_e64 s0, s18, v4
	v_xor_b32_e32 v17, s20, v17
	v_cndmask_b32_e64 v4, v10, v24, s0
	v_xor_b32_e32 v4, v4, v17
	v_sub_nc_u32_e32 v10, v4, v17
	v_mul_lo_u32 v4, v10, s10
	v_sub_nc_u32_e32 v4, v93, v4
	v_mad_u64_u32 v[97:98], null, v10, s8, v[4:5]
	v_cmp_gt_i32_e64 s0, s8, v4
	v_mov_b32_e32 v98, 0
	v_mov_b32_e32 v99, 0
	v_cmp_gt_i32_e64 s1, s9, v97
	v_cmp_lt_i32_e64 s2, -1, v97
	s_and_b32 s0, s0, s1
	s_and_b32 s0, s0, s2
	s_and_saveexec_b32 s1, s0
	s_cbranch_execz .LBB0_57
; %bb.56:                               ;   in Loop: Header=BB0_3 Depth=1
	v_mov_b32_e32 v98, v2
	v_lshlrev_b64 v[97:98], 3, v[97:98]
	v_add_co_u32 v97, s0, s14, v97
	v_add_co_ci_u32_e64 v98, null, s15, v98, s0
	global_load_dwordx2 v[98:99], v[97:98], off
.LBB0_57:                               ;   in Loop: Header=BB0_3 Depth=1
	s_or_b32 exec_lo, exec_lo, s1
	v_subrev_nc_u32_e32 v97, s16, v93
	v_sub_nc_u32_e32 v4, 0, v97
	v_max_i32_e32 v4, v97, v4
	v_mul_hi_u32 v10, v4, v116
	v_mul_lo_u32 v17, v10, s18
	v_sub_nc_u32_e32 v4, v4, v17
	v_add_nc_u32_e32 v17, 1, v10
	v_subrev_nc_u32_e32 v24, s18, v4
	v_cmp_le_u32_e64 s0, s18, v4
	v_cndmask_b32_e64 v10, v10, v17, s0
	v_cndmask_b32_e64 v4, v4, v24, s0
	v_ashrrev_i32_e32 v17, 31, v97
	v_add_nc_u32_e32 v24, 1, v10
	v_cmp_le_u32_e64 s0, s18, v4
	v_xor_b32_e32 v17, s20, v17
	v_cndmask_b32_e64 v4, v10, v24, s0
	v_xor_b32_e32 v4, v4, v17
	v_sub_nc_u32_e32 v10, v4, v17
	v_mul_lo_u32 v4, v10, s10
	v_sub_nc_u32_e32 v4, v97, v4
	v_mad_u64_u32 v[100:101], null, v10, s8, v[4:5]
	v_cmp_gt_i32_e64 s0, s8, v4
	v_cmp_gt_i32_e64 s1, s9, v100
	v_cmp_lt_i32_e64 s2, -1, v100
	s_and_b32 s0, s0, s1
	s_and_b32 s0, s0, s2
	s_and_saveexec_b32 s1, s0
	s_cbranch_execz .LBB0_59
; %bb.58:                               ;   in Loop: Header=BB0_3 Depth=1
	v_mov_b32_e32 v101, v2
	v_lshlrev_b64 v[94:95], 3, v[100:101]
	v_add_co_u32 v94, s0, s14, v94
	v_add_co_ci_u32_e64 v95, null, s15, v95, s0
	global_load_dwordx2 v[95:96], v[94:95], off
.LBB0_59:                               ;   in Loop: Header=BB0_3 Depth=1
	s_or_b32 exec_lo, exec_lo, s1
	v_subrev_nc_u32_e32 v100, s16, v97
	v_mov_b32_e32 v102, 0
	v_mov_b32_e32 v103, 0
	v_sub_nc_u32_e32 v4, 0, v100
	v_max_i32_e32 v4, v100, v4
	v_mul_hi_u32 v10, v4, v116
	v_mul_lo_u32 v17, v10, s18
	v_sub_nc_u32_e32 v4, v4, v17
	v_add_nc_u32_e32 v17, 1, v10
	v_subrev_nc_u32_e32 v24, s18, v4
	v_cmp_le_u32_e64 s0, s18, v4
	v_cndmask_b32_e64 v10, v10, v17, s0
	v_cndmask_b32_e64 v4, v4, v24, s0
	v_ashrrev_i32_e32 v17, 31, v100
	v_add_nc_u32_e32 v24, 1, v10
	v_cmp_le_u32_e64 s0, s18, v4
	v_xor_b32_e32 v17, s20, v17
	v_cndmask_b32_e64 v4, v10, v24, s0
	v_xor_b32_e32 v4, v4, v17
	v_sub_nc_u32_e32 v10, v4, v17
	v_mul_lo_u32 v4, v10, s10
	v_sub_nc_u32_e32 v4, v100, v4
	v_mad_u64_u32 v[104:105], null, v10, s8, v[4:5]
	v_cmp_gt_i32_e64 s0, s8, v4
	v_mov_b32_e32 v105, 0
	v_mov_b32_e32 v106, 0
	v_cmp_gt_i32_e64 s1, s9, v104
	v_cmp_lt_i32_e64 s2, -1, v104
	s_and_b32 s0, s0, s1
	s_and_b32 s0, s0, s2
	s_and_saveexec_b32 s1, s0
	s_cbranch_execz .LBB0_61
; %bb.60:                               ;   in Loop: Header=BB0_3 Depth=1
	v_mov_b32_e32 v105, v2
	v_lshlrev_b64 v[104:105], 3, v[104:105]
	v_add_co_u32 v104, s0, s14, v104
	v_add_co_ci_u32_e64 v105, null, s15, v105, s0
	global_load_dwordx2 v[105:106], v[104:105], off
.LBB0_61:                               ;   in Loop: Header=BB0_3 Depth=1
	s_or_b32 exec_lo, exec_lo, s1
	v_subrev_nc_u32_e32 v104, s16, v100
	v_sub_nc_u32_e32 v4, 0, v104
	v_max_i32_e32 v4, v104, v4
	v_mul_hi_u32 v10, v4, v116
	v_mul_lo_u32 v17, v10, s18
	v_sub_nc_u32_e32 v4, v4, v17
	v_add_nc_u32_e32 v17, 1, v10
	v_subrev_nc_u32_e32 v24, s18, v4
	v_cmp_le_u32_e64 s0, s18, v4
	v_cndmask_b32_e64 v10, v10, v17, s0
	v_cndmask_b32_e64 v4, v4, v24, s0
	v_ashrrev_i32_e32 v17, 31, v104
	v_add_nc_u32_e32 v24, 1, v10
	v_cmp_le_u32_e64 s0, s18, v4
	v_xor_b32_e32 v17, s20, v17
	v_cndmask_b32_e64 v4, v10, v24, s0
	v_xor_b32_e32 v4, v4, v17
	v_sub_nc_u32_e32 v10, v4, v17
	v_mul_lo_u32 v4, v10, s10
	v_sub_nc_u32_e32 v4, v104, v4
	v_mad_u64_u32 v[107:108], null, v10, s8, v[4:5]
	v_cmp_gt_i32_e64 s0, s8, v4
	v_cmp_gt_i32_e64 s1, s9, v107
	v_cmp_lt_i32_e64 s2, -1, v107
	s_and_b32 s0, s0, s1
	s_and_b32 s0, s0, s2
	s_and_saveexec_b32 s1, s0
	s_cbranch_execz .LBB0_63
; %bb.62:                               ;   in Loop: Header=BB0_3 Depth=1
	v_mov_b32_e32 v108, v2
	v_lshlrev_b64 v[101:102], 3, v[107:108]
	v_add_co_u32 v101, s0, s14, v101
	v_add_co_ci_u32_e64 v102, null, s15, v102, s0
	global_load_dwordx2 v[102:103], v[101:102], off
.LBB0_63:                               ;   in Loop: Header=BB0_3 Depth=1
	s_or_b32 exec_lo, exec_lo, s1
	v_subrev_nc_u32_e32 v107, s16, v104
	v_mov_b32_e32 v109, 0
	v_mov_b32_e32 v110, 0
	v_sub_nc_u32_e32 v4, 0, v107
	v_max_i32_e32 v4, v107, v4
	v_mul_hi_u32 v10, v4, v116
	v_mul_lo_u32 v17, v10, s18
	v_sub_nc_u32_e32 v4, v4, v17
	v_add_nc_u32_e32 v17, 1, v10
	v_subrev_nc_u32_e32 v24, s18, v4
	v_cmp_le_u32_e64 s0, s18, v4
	v_cndmask_b32_e64 v10, v10, v17, s0
	v_cndmask_b32_e64 v4, v4, v24, s0
	v_ashrrev_i32_e32 v17, 31, v107
	v_add_nc_u32_e32 v24, 1, v10
	v_cmp_le_u32_e64 s0, s18, v4
	v_xor_b32_e32 v17, s20, v17
	v_cndmask_b32_e64 v4, v10, v24, s0
	v_xor_b32_e32 v4, v4, v17
	v_sub_nc_u32_e32 v10, v4, v17
	v_mul_lo_u32 v4, v10, s10
	v_sub_nc_u32_e32 v4, v107, v4
	v_mad_u64_u32 v[111:112], null, v10, s8, v[4:5]
	v_cmp_gt_i32_e64 s0, s8, v4
	v_mov_b32_e32 v112, 0
	v_mov_b32_e32 v113, 0
	v_cmp_gt_i32_e64 s1, s9, v111
	v_cmp_lt_i32_e64 s2, -1, v111
	s_and_b32 s0, s0, s1
	s_and_b32 s0, s0, s2
	s_and_saveexec_b32 s1, s0
	s_cbranch_execz .LBB0_65
; %bb.64:                               ;   in Loop: Header=BB0_3 Depth=1
	v_mov_b32_e32 v112, v2
	v_lshlrev_b64 v[111:112], 3, v[111:112]
	v_add_co_u32 v111, s0, s14, v111
	v_add_co_ci_u32_e64 v112, null, s15, v112, s0
	global_load_dwordx2 v[112:113], v[111:112], off
.LBB0_65:                               ;   in Loop: Header=BB0_3 Depth=1
	s_or_b32 exec_lo, exec_lo, s1
	v_subrev_nc_u32_e32 v111, s16, v107
	v_sub_nc_u32_e32 v4, 0, v111
	v_max_i32_e32 v4, v111, v4
	v_mul_hi_u32 v10, v4, v116
	v_mul_lo_u32 v17, v10, s18
	v_sub_nc_u32_e32 v4, v4, v17
	v_add_nc_u32_e32 v17, 1, v10
	v_subrev_nc_u32_e32 v24, s18, v4
	v_cmp_le_u32_e64 s0, s18, v4
	v_cndmask_b32_e64 v10, v10, v17, s0
	v_cndmask_b32_e64 v4, v4, v24, s0
	v_ashrrev_i32_e32 v17, 31, v111
	v_add_nc_u32_e32 v24, 1, v10
	v_cmp_le_u32_e64 s0, s18, v4
	v_xor_b32_e32 v17, s20, v17
	v_cndmask_b32_e64 v4, v10, v24, s0
	v_xor_b32_e32 v4, v4, v17
	v_sub_nc_u32_e32 v10, v4, v17
	v_mul_lo_u32 v4, v10, s10
	v_sub_nc_u32_e32 v4, v111, v4
	v_mad_u64_u32 v[114:115], null, v10, s8, v[4:5]
	v_cmp_gt_i32_e64 s0, s8, v4
	v_cmp_gt_i32_e64 s1, s9, v114
	v_cmp_lt_i32_e64 s2, -1, v114
	s_and_b32 s0, s0, s1
	s_and_b32 s0, s0, s2
	s_and_saveexec_b32 s1, s0
	s_cbranch_execz .LBB0_67
; %bb.66:                               ;   in Loop: Header=BB0_3 Depth=1
	v_mov_b32_e32 v115, v2
	v_lshlrev_b64 v[108:109], 3, v[114:115]
	v_add_co_u32 v108, s0, s14, v108
	v_add_co_ci_u32_e64 v109, null, s15, v109, s0
	global_load_dwordx2 v[109:110], v[108:109], off
.LBB0_67:                               ;   in Loop: Header=BB0_3 Depth=1
	s_or_b32 exec_lo, exec_lo, s1
	s_waitcnt vmcnt(0)
	s_barrier
	buffer_gl0_inv
	s_and_saveexec_b32 s1, vcc_lo
	s_cbranch_execz .LBB0_74
; %bb.68:                               ;   in Loop: Header=BB0_3 Depth=1
	s_ashr_i32 s7, s6, 31
	s_lshl_b64 s[2:3], s[6:7], 2
	s_add_u32 s2, s4, s2
	s_addc_u32 s3, s5, s3
	s_branch .LBB0_70
.LBB0_69:                               ;   in Loop: Header=BB0_70 Depth=2
	s_or_b32 exec_lo, exec_lo, s7
	s_waitcnt vmcnt(0)
	v_readfirstlane_b32 s0, v4
	s_cmp_eq_u32 s0, 0
	s_cbranch_scc0 .LBB0_72
.LBB0_70:                               ;   Parent Loop BB0_3 Depth=1
                                        ; =>  This Inner Loop Header: Depth=2
	v_mbcnt_lo_u32_b32 v4, exec_lo, 0
	v_cmp_eq_u32_e64 s0, 0, v4
                                        ; implicit-def: $vgpr4
	s_and_saveexec_b32 s7, s0
	s_cbranch_execz .LBB0_69
; %bb.71:                               ;   in Loop: Header=BB0_70 Depth=2
	global_load_dword v4, v2, s[2:3] glc dlc
	s_branch .LBB0_69
.LBB0_72:                               ;   in Loop: Header=BB0_3 Depth=1
	s_mov_b32 s7, exec_lo
	v_mbcnt_lo_u32_b32 v4, s7, 0
	v_cmp_eq_u32_e64 s0, 0, v4
	s_and_b32 s0, exec_lo, s0
	s_mov_b32 exec_lo, s0
	s_cbranch_execz .LBB0_74
; %bb.73:                               ;   in Loop: Header=BB0_3 Depth=1
	s_bcnt1_i32_b32 s0, s7
	v_mov_b32_e32 v4, s0
	global_atomic_add v2, v4, s[2:3] offset:4
.LBB0_74:                               ;   in Loop: Header=BB0_3 Depth=1
	s_or_b32 exec_lo, exec_lo, s1
	v_cmp_lt_i32_e64 s0, -1, v3
	v_cmp_gt_i32_e64 s1, s9, v3
	s_waitcnt_vscnt null, 0x0
	s_barrier
	buffer_gl0_inv
	s_and_b32 s0, s0, s1
	s_and_saveexec_b32 s1, s0
	s_cbranch_execz .LBB0_76
; %bb.75:                               ;   in Loop: Header=BB0_3 Depth=1
	v_mov_b32_e32 v4, v2
	v_lshlrev_b64 v[3:4], 3, v[3:4]
	v_add_co_u32 v3, s0, s12, v3
	v_add_co_ci_u32_e64 v4, null, s13, v4, s0
	global_store_dwordx2 v[3:4], v[7:8], off
.LBB0_76:                               ;   in Loop: Header=BB0_3 Depth=1
	s_or_b32 exec_lo, exec_lo, s1
	v_cmp_lt_i32_e64 s0, -1, v1
	v_cmp_gt_i32_e64 s1, s9, v1
	s_and_b32 s0, s0, s1
	s_and_saveexec_b32 s1, s0
	s_cbranch_execz .LBB0_78
; %bb.77:                               ;   in Loop: Header=BB0_3 Depth=1
	v_lshlrev_b64 v[3:4], 3, v[1:2]
	v_add_co_u32 v3, s0, s12, v3
	v_add_co_ci_u32_e64 v4, null, s13, v4, s0
	global_store_dwordx2 v[3:4], v[5:6], off
.LBB0_78:                               ;   in Loop: Header=BB0_3 Depth=1
	s_or_b32 exec_lo, exec_lo, s1
	v_cmp_lt_i32_e64 s0, -1, v9
	v_cmp_gt_i32_e64 s1, s9, v9
	s_and_b32 s0, s0, s1
	s_and_saveexec_b32 s1, s0
	s_cbranch_execz .LBB0_80
; %bb.79:                               ;   in Loop: Header=BB0_3 Depth=1
	v_mov_b32_e32 v10, v2
	v_lshlrev_b64 v[3:4], 3, v[9:10]
	v_add_co_u32 v3, s0, s12, v3
	v_add_co_ci_u32_e64 v4, null, s13, v4, s0
	global_store_dwordx2 v[3:4], v[14:15], off
.LBB0_80:                               ;   in Loop: Header=BB0_3 Depth=1
	s_or_b32 exec_lo, exec_lo, s1
	v_cmp_lt_i32_e64 s0, -1, v13
	v_cmp_gt_i32_e64 s1, s9, v13
	s_and_b32 s0, s0, s1
	s_and_saveexec_b32 s1, s0
	s_cbranch_execz .LBB0_82
; %bb.81:                               ;   in Loop: Header=BB0_3 Depth=1
	v_mov_b32_e32 v14, v2
	v_lshlrev_b64 v[3:4], 3, v[13:14]
	v_add_co_u32 v3, s0, s12, v3
	v_add_co_ci_u32_e64 v4, null, s13, v4, s0
	global_store_dwordx2 v[3:4], v[11:12], off
.LBB0_82:                               ;   in Loop: Header=BB0_3 Depth=1
	;; [unrolled: 13-line block ×10, first 2 shown]
	s_or_b32 exec_lo, exec_lo, s1
	v_cmp_lt_i32_e64 s0, -1, v44
	v_cmp_gt_i32_e64 s1, s9, v44
	s_and_b32 s0, s0, s1
	s_and_saveexec_b32 s1, s0
	s_cbranch_execz .LBB0_100
; %bb.99:                               ;   in Loop: Header=BB0_3 Depth=1
	v_mov_b32_e32 v45, v2
	v_lshlrev_b64 v[3:4], 3, v[44:45]
	v_add_co_u32 v3, s0, s12, v3
	v_add_co_ci_u32_e64 v4, null, s13, v4, s0
	global_store_dwordx2 v[3:4], v[49:50], off
.LBB0_100:                              ;   in Loop: Header=BB0_3 Depth=1
	s_or_b32 exec_lo, exec_lo, s1
	v_cmp_lt_i32_e64 s0, -1, v48
	v_cmp_gt_i32_e64 s1, s9, v48
	s_and_b32 s0, s0, s1
	s_and_saveexec_b32 s1, s0
	s_cbranch_execz .LBB0_102
; %bb.101:                              ;   in Loop: Header=BB0_3 Depth=1
	v_mov_b32_e32 v49, v2
	v_lshlrev_b64 v[3:4], 3, v[48:49]
	v_add_co_u32 v3, s0, s12, v3
	v_add_co_ci_u32_e64 v4, null, s13, v4, s0
	global_store_dwordx2 v[3:4], v[46:47], off
.LBB0_102:                              ;   in Loop: Header=BB0_3 Depth=1
	s_or_b32 exec_lo, exec_lo, s1
	v_cmp_lt_i32_e64 s0, -1, v51
	v_cmp_gt_i32_e64 s1, s9, v51
	s_and_b32 s0, s0, s1
	s_and_saveexec_b32 s1, s0
	s_cbranch_execz .LBB0_104
; %bb.103:                              ;   in Loop: Header=BB0_3 Depth=1
	v_mov_b32_e32 v52, v2
	v_lshlrev_b64 v[3:4], 3, v[51:52]
	v_add_co_u32 v3, s0, s12, v3
	v_add_co_ci_u32_e64 v4, null, s13, v4, s0
	global_store_dwordx2 v[3:4], v[56:57], off
.LBB0_104:                              ;   in Loop: Header=BB0_3 Depth=1
	;; [unrolled: 13-line block ×18, first 2 shown]
	s_or_b32 exec_lo, exec_lo, s1
	v_cmp_lt_i32_e64 s0, -1, v111
	v_cmp_gt_i32_e64 s1, s9, v111
	s_and_b32 s0, s0, s1
	s_and_saveexec_b32 s1, s0
	s_cbranch_execz .LBB0_2
; %bb.137:                              ;   in Loop: Header=BB0_3 Depth=1
	v_mov_b32_e32 v112, v2
	v_lshlrev_b64 v[3:4], 3, v[111:112]
	v_add_co_u32 v3, s0, s12, v3
	v_add_co_ci_u32_e64 v4, null, s13, v4, s0
	global_store_dwordx2 v[3:4], v[109:110], off
	s_branch .LBB0_2
.LBB0_138:
	s_endpgm
	.section	.rodata,"a",@progbits
	.p2align	6, 0x0
	.amdhsa_kernel _Z14Padding_kerneliiiifPdPKdPi
		.amdhsa_group_segment_fixed_size 0
		.amdhsa_private_segment_fixed_size 0
		.amdhsa_kernarg_size 304
		.amdhsa_user_sgpr_count 6
		.amdhsa_user_sgpr_private_segment_buffer 1
		.amdhsa_user_sgpr_dispatch_ptr 0
		.amdhsa_user_sgpr_queue_ptr 0
		.amdhsa_user_sgpr_kernarg_segment_ptr 1
		.amdhsa_user_sgpr_dispatch_id 0
		.amdhsa_user_sgpr_flat_scratch_init 0
		.amdhsa_user_sgpr_private_segment_size 0
		.amdhsa_wavefront_size32 1
		.amdhsa_uses_dynamic_stack 0
		.amdhsa_system_sgpr_private_segment_wavefront_offset 0
		.amdhsa_system_sgpr_workgroup_id_x 1
		.amdhsa_system_sgpr_workgroup_id_y 0
		.amdhsa_system_sgpr_workgroup_id_z 0
		.amdhsa_system_sgpr_workgroup_info 0
		.amdhsa_system_vgpr_workitem_id 0
		.amdhsa_next_free_vgpr 117
		.amdhsa_next_free_sgpr 21
		.amdhsa_reserve_vcc 1
		.amdhsa_reserve_flat_scratch 0
		.amdhsa_float_round_mode_32 0
		.amdhsa_float_round_mode_16_64 0
		.amdhsa_float_denorm_mode_32 3
		.amdhsa_float_denorm_mode_16_64 3
		.amdhsa_dx10_clamp 1
		.amdhsa_ieee_mode 1
		.amdhsa_fp16_overflow 0
		.amdhsa_workgroup_processor_mode 1
		.amdhsa_memory_ordered 1
		.amdhsa_forward_progress 1
		.amdhsa_shared_vgpr_count 0
		.amdhsa_exception_fp_ieee_invalid_op 0
		.amdhsa_exception_fp_denorm_src 0
		.amdhsa_exception_fp_ieee_div_zero 0
		.amdhsa_exception_fp_ieee_overflow 0
		.amdhsa_exception_fp_ieee_underflow 0
		.amdhsa_exception_fp_ieee_inexact 0
		.amdhsa_exception_int_div_zero 0
	.end_amdhsa_kernel
	.text
.Lfunc_end0:
	.size	_Z14Padding_kerneliiiifPdPKdPi, .Lfunc_end0-_Z14Padding_kerneliiiifPdPKdPi
                                        ; -- End function
	.set _Z14Padding_kerneliiiifPdPKdPi.num_vgpr, 117
	.set _Z14Padding_kerneliiiifPdPKdPi.num_agpr, 0
	.set _Z14Padding_kerneliiiifPdPKdPi.numbered_sgpr, 21
	.set _Z14Padding_kerneliiiifPdPKdPi.num_named_barrier, 0
	.set _Z14Padding_kerneliiiifPdPKdPi.private_seg_size, 0
	.set _Z14Padding_kerneliiiifPdPKdPi.uses_vcc, 1
	.set _Z14Padding_kerneliiiifPdPKdPi.uses_flat_scratch, 0
	.set _Z14Padding_kerneliiiifPdPKdPi.has_dyn_sized_stack, 0
	.set _Z14Padding_kerneliiiifPdPKdPi.has_recursion, 0
	.set _Z14Padding_kerneliiiifPdPKdPi.has_indirect_call, 0
	.section	.AMDGPU.csdata,"",@progbits
; Kernel info:
; codeLenInByte = 9300
; TotalNumSgprs: 23
; NumVgprs: 117
; ScratchSize: 0
; MemoryBound: 0
; FloatMode: 240
; IeeeMode: 1
; LDSByteSize: 0 bytes/workgroup (compile time only)
; SGPRBlocks: 0
; VGPRBlocks: 14
; NumSGPRsForWavesPerEU: 23
; NumVGPRsForWavesPerEU: 117
; Occupancy: 8
; WaveLimiterHint : 0
; COMPUTE_PGM_RSRC2:SCRATCH_EN: 0
; COMPUTE_PGM_RSRC2:USER_SGPR: 6
; COMPUTE_PGM_RSRC2:TRAP_HANDLER: 0
; COMPUTE_PGM_RSRC2:TGID_X_EN: 1
; COMPUTE_PGM_RSRC2:TGID_Y_EN: 0
; COMPUTE_PGM_RSRC2:TGID_Z_EN: 0
; COMPUTE_PGM_RSRC2:TIDIG_COMP_CNT: 0
	.text
	.p2alignl 6, 3214868480
	.fill 48, 4, 3214868480
	.section	.AMDGPU.gpr_maximums,"",@progbits
	.set amdgpu.max_num_vgpr, 0
	.set amdgpu.max_num_agpr, 0
	.set amdgpu.max_num_sgpr, 0
	.text
	.type	__hip_cuid_e21eb44169d8ff55,@object ; @__hip_cuid_e21eb44169d8ff55
	.section	.bss,"aw",@nobits
	.globl	__hip_cuid_e21eb44169d8ff55
__hip_cuid_e21eb44169d8ff55:
	.byte	0                               ; 0x0
	.size	__hip_cuid_e21eb44169d8ff55, 1

	.ident	"AMD clang version 22.0.0git (https://github.com/RadeonOpenCompute/llvm-project roc-7.2.4 26084 f58b06dce1f9c15707c5f808fd002e18c2accf7e)"
	.section	".note.GNU-stack","",@progbits
	.addrsig
	.addrsig_sym __hip_cuid_e21eb44169d8ff55
	.amdgpu_metadata
---
amdhsa.kernels:
  - .args:
      - .offset:         0
        .size:           4
        .value_kind:     by_value
      - .offset:         4
        .size:           4
        .value_kind:     by_value
      - .offset:         8
        .size:           4
        .value_kind:     by_value
      - .offset:         12
        .size:           4
        .value_kind:     by_value
      - .offset:         16
        .size:           4
        .value_kind:     by_value
      - .actual_access:  write_only
        .address_space:  global
        .offset:         24
        .size:           8
        .value_kind:     global_buffer
      - .address_space:  global
        .offset:         32
        .size:           8
        .value_kind:     global_buffer
      - .address_space:  global
        .offset:         40
        .size:           8
        .value_kind:     global_buffer
      - .offset:         48
        .size:           4
        .value_kind:     hidden_block_count_x
      - .offset:         52
        .size:           4
        .value_kind:     hidden_block_count_y
      - .offset:         56
        .size:           4
        .value_kind:     hidden_block_count_z
      - .offset:         60
        .size:           2
        .value_kind:     hidden_group_size_x
      - .offset:         62
        .size:           2
        .value_kind:     hidden_group_size_y
      - .offset:         64
        .size:           2
        .value_kind:     hidden_group_size_z
      - .offset:         66
        .size:           2
        .value_kind:     hidden_remainder_x
      - .offset:         68
        .size:           2
        .value_kind:     hidden_remainder_y
      - .offset:         70
        .size:           2
        .value_kind:     hidden_remainder_z
      - .offset:         88
        .size:           8
        .value_kind:     hidden_global_offset_x
      - .offset:         96
        .size:           8
        .value_kind:     hidden_global_offset_y
      - .offset:         104
        .size:           8
        .value_kind:     hidden_global_offset_z
      - .offset:         112
        .size:           2
        .value_kind:     hidden_grid_dims
    .group_segment_fixed_size: 0
    .kernarg_segment_align: 8
    .kernarg_segment_size: 304
    .language:       OpenCL C
    .language_version:
      - 2
      - 0
    .max_flat_workgroup_size: 1024
    .name:           _Z14Padding_kerneliiiifPdPKdPi
    .private_segment_fixed_size: 0
    .sgpr_count:     23
    .sgpr_spill_count: 0
    .symbol:         _Z14Padding_kerneliiiifPdPKdPi.kd
    .uniform_work_group_size: 1
    .uses_dynamic_stack: false
    .vgpr_count:     117
    .vgpr_spill_count: 0
    .wavefront_size: 32
    .workgroup_processor_mode: 1
amdhsa.target:   amdgcn-amd-amdhsa--gfx1030
amdhsa.version:
  - 1
  - 2
...

	.end_amdgpu_metadata
